;; amdgpu-corpus repo=ROCm/rocFFT kind=compiled arch=gfx906 opt=O3
	.text
	.amdgcn_target "amdgcn-amd-amdhsa--gfx906"
	.amdhsa_code_object_version 6
	.protected	bluestein_single_fwd_len225_dim1_sp_op_CI_CI ; -- Begin function bluestein_single_fwd_len225_dim1_sp_op_CI_CI
	.globl	bluestein_single_fwd_len225_dim1_sp_op_CI_CI
	.p2align	8
	.type	bluestein_single_fwd_len225_dim1_sp_op_CI_CI,@function
bluestein_single_fwd_len225_dim1_sp_op_CI_CI: ; @bluestein_single_fwd_len225_dim1_sp_op_CI_CI
; %bb.0:
	v_mul_u32_u24_e32 v1, 0x36a, v0
	s_load_dwordx4 s[0:3], s[4:5], 0x28
	v_lshrrev_b32_e32 v1, 16, v1
	v_mad_u64_u32 v[32:33], s[6:7], s6, 3, v[1:2]
	v_mov_b32_e32 v33, 0
	s_waitcnt lgkmcnt(0)
	v_cmp_gt_u64_e32 vcc, s[0:1], v[32:33]
	s_and_saveexec_b64 s[0:1], vcc
	s_cbranch_execz .LBB0_23
; %bb.1:
	s_mov_b32 s0, 0xaaaaaaab
	v_mul_hi_u32 v2, v32, s0
	v_mul_lo_u16_e32 v1, 0x4b, v1
	s_load_dwordx2 s[8:9], s[4:5], 0x0
	s_load_dwordx2 s[6:7], s[4:5], 0x38
	v_sub_u16_e32 v35, v0, v1
	v_lshrrev_b32_e32 v0, 1, v2
	v_lshl_add_u32 v0, v0, 1, v0
	v_sub_u32_e32 v0, v32, v0
	v_mul_u32_u24_e32 v36, 0xe1, v0
	v_cmp_gt_u16_e32 vcc, 45, v35
	v_lshlrev_b32_e32 v37, 3, v35
	v_lshlrev_b32_e32 v38, 3, v36
	s_and_saveexec_b64 s[10:11], vcc
	s_cbranch_execz .LBB0_3
; %bb.2:
	s_load_dwordx2 s[0:1], s[4:5], 0x18
	v_lshl_add_u32 v22, v35, 3, v38
	v_add_u32_e32 v23, v38, v37
	s_waitcnt lgkmcnt(0)
	s_load_dwordx4 s[12:15], s[0:1], 0x0
	s_waitcnt lgkmcnt(0)
	v_mad_u64_u32 v[0:1], s[0:1], s14, v32, 0
	v_mad_u64_u32 v[2:3], s[0:1], s12, v35, 0
	;; [unrolled: 1-line block ×4, first 2 shown]
	v_mov_b32_e32 v1, v4
	v_lshlrev_b64 v[0:1], 3, v[0:1]
	v_mov_b32_e32 v3, v5
	v_mov_b32_e32 v6, s3
	v_lshlrev_b64 v[2:3], 3, v[2:3]
	v_add_co_u32_e64 v0, s[0:1], s2, v0
	v_addc_co_u32_e64 v1, s[0:1], v6, v1, s[0:1]
	v_add_co_u32_e64 v0, s[0:1], v0, v2
	v_addc_co_u32_e64 v1, s[0:1], v1, v3, s[0:1]
	s_mul_i32 s0, s13, 0x168
	s_mul_hi_u32 s1, s12, 0x168
	s_add_i32 s2, s1, s0
	s_mul_i32 s3, s12, 0x168
	v_mov_b32_e32 v3, s2
	v_add_co_u32_e64 v2, s[0:1], s3, v0
	v_addc_co_u32_e64 v3, s[0:1], v1, v3, s[0:1]
	v_mov_b32_e32 v7, s2
	v_add_co_u32_e64 v6, s[0:1], s3, v2
	global_load_dwordx2 v[4:5], v37, s[8:9]
	v_addc_co_u32_e64 v7, s[0:1], v3, v7, s[0:1]
	global_load_dwordx2 v[8:9], v[0:1], off
	global_load_dwordx2 v[10:11], v[2:3], off
	;; [unrolled: 1-line block ×3, first 2 shown]
	v_mov_b32_e32 v14, s2
	v_add_co_u32_e64 v6, s[0:1], s3, v6
	global_load_dwordx2 v[0:1], v37, s[8:9] offset:360
	global_load_dwordx2 v[2:3], v37, s[8:9] offset:720
	v_addc_co_u32_e64 v7, s[0:1], v7, v14, s[0:1]
	global_load_dwordx2 v[14:15], v37, s[8:9] offset:1080
	global_load_dwordx2 v[16:17], v[6:7], off
	v_mov_b32_e32 v18, s2
	v_add_co_u32_e64 v6, s[0:1], s3, v6
	v_addc_co_u32_e64 v7, s[0:1], v7, v18, s[0:1]
	global_load_dwordx2 v[18:19], v37, s[8:9] offset:1440
	global_load_dwordx2 v[20:21], v[6:7], off
	s_waitcnt vmcnt(8)
	v_mul_f32_e32 v6, v8, v5
	v_mul_f32_e32 v5, v9, v5
	v_fma_f32 v6, v9, v4, -v6
	v_fmac_f32_e32 v5, v8, v4
	ds_write_b64 v22, v[5:6]
	s_waitcnt vmcnt(5)
	v_mul_f32_e32 v4, v10, v1
	v_mul_f32_e32 v7, v11, v1
	v_fma_f32 v8, v11, v0, -v4
	v_fmac_f32_e32 v7, v10, v0
	s_waitcnt vmcnt(4)
	v_mul_f32_e32 v1, v12, v3
	v_mul_f32_e32 v0, v13, v3
	v_fma_f32 v1, v13, v2, -v1
	v_fmac_f32_e32 v0, v12, v2
	s_waitcnt vmcnt(2)
	v_mul_f32_e32 v2, v17, v15
	v_mul_f32_e32 v3, v16, v15
	ds_write2_b64 v23, v[7:8], v[0:1] offset0:45 offset1:90
	s_waitcnt vmcnt(0)
	v_mul_f32_e32 v0, v21, v19
	v_mul_f32_e32 v1, v20, v19
	v_fmac_f32_e32 v2, v16, v14
	v_fma_f32 v3, v17, v14, -v3
	v_fmac_f32_e32 v0, v20, v18
	v_fma_f32 v1, v21, v18, -v1
	ds_write2_b64 v23, v[2:3], v[0:1] offset0:135 offset1:180
.LBB0_3:
	s_or_b64 exec, exec, s[10:11]
	s_waitcnt lgkmcnt(0)
	s_barrier
	s_waitcnt lgkmcnt(0)
                                        ; implicit-def: $vgpr12
                                        ; implicit-def: $vgpr0
                                        ; implicit-def: $vgpr4
	s_and_saveexec_b64 s[0:1], vcc
	s_cbranch_execz .LBB0_5
; %bb.4:
	v_lshl_add_u32 v4, v36, 3, v37
	ds_read2_b64 v[12:15], v4 offset1:45
	ds_read2_b64 v[0:3], v4 offset0:90 offset1:135
	ds_read_b64 v[4:5], v4 offset:1440
.LBB0_5:
	s_or_b64 exec, exec, s[0:1]
	s_waitcnt lgkmcnt(2)
	v_add_f32_e32 v6, v12, v14
	s_waitcnt lgkmcnt(1)
	v_add_f32_e32 v6, v6, v0
	v_add_f32_e32 v6, v6, v2
	s_waitcnt lgkmcnt(0)
	v_add_f32_e32 v8, v6, v4
	v_add_f32_e32 v6, v0, v2
	v_fma_f32 v20, -0.5, v6, v12
	v_sub_f32_e32 v6, v15, v5
	v_mov_b32_e32 v10, v20
	v_fmac_f32_e32 v10, 0x3f737871, v6
	v_sub_f32_e32 v7, v1, v3
	v_sub_f32_e32 v9, v14, v0
	;; [unrolled: 1-line block ×3, first 2 shown]
	v_fmac_f32_e32 v20, 0xbf737871, v6
	v_fmac_f32_e32 v10, 0x3f167918, v7
	v_add_f32_e32 v9, v9, v11
	v_fmac_f32_e32 v20, 0xbf167918, v7
	v_fmac_f32_e32 v10, 0x3e9e377a, v9
	;; [unrolled: 1-line block ×3, first 2 shown]
	v_add_f32_e32 v9, v14, v4
	v_fmac_f32_e32 v12, -0.5, v9
	v_mov_b32_e32 v16, v12
	v_fmac_f32_e32 v16, 0xbf737871, v7
	v_fmac_f32_e32 v12, 0x3f737871, v7
	;; [unrolled: 1-line block ×4, first 2 shown]
	v_add_f32_e32 v6, v13, v15
	v_sub_f32_e32 v9, v0, v14
	v_sub_f32_e32 v11, v2, v4
	v_add_f32_e32 v6, v6, v1
	v_add_f32_e32 v9, v9, v11
	;; [unrolled: 1-line block ×3, first 2 shown]
	v_fmac_f32_e32 v16, 0x3e9e377a, v9
	v_fmac_f32_e32 v12, 0x3e9e377a, v9
	v_add_f32_e32 v9, v6, v5
	v_add_f32_e32 v6, v1, v3
	v_sub_f32_e32 v0, v0, v2
	v_add_f32_e32 v2, v15, v5
	s_load_dwordx2 s[10:11], s[4:5], 0x8
	v_fma_f32 v21, -0.5, v6, v13
	v_fmac_f32_e32 v13, -0.5, v2
	v_sub_f32_e32 v4, v14, v4
	v_mov_b32_e32 v11, v21
	v_mov_b32_e32 v17, v13
	v_fmac_f32_e32 v11, 0xbf737871, v4
	v_sub_f32_e32 v6, v15, v1
	v_sub_f32_e32 v7, v5, v3
	v_fmac_f32_e32 v21, 0x3f737871, v4
	v_fmac_f32_e32 v17, 0x3f737871, v0
	v_sub_f32_e32 v1, v1, v15
	v_sub_f32_e32 v2, v3, v5
	v_fmac_f32_e32 v13, 0xbf737871, v0
	v_add_f32_e32 v6, v6, v7
	v_fmac_f32_e32 v11, 0xbf167918, v0
	v_fmac_f32_e32 v21, 0x3f167918, v0
	v_fmac_f32_e32 v17, 0xbf167918, v4
	v_add_f32_e32 v1, v1, v2
	v_fmac_f32_e32 v13, 0x3f167918, v4
	v_fmac_f32_e32 v11, 0x3e9e377a, v6
	;; [unrolled: 1-line block ×5, first 2 shown]
	v_mul_lo_u16_e32 v31, 5, v35
	s_waitcnt lgkmcnt(0)
	s_barrier
	s_and_saveexec_b64 s[0:1], vcc
	s_cbranch_execz .LBB0_7
; %bb.6:
	v_add_lshl_u32 v2, v36, v31, 3
	v_mov_b32_e32 v0, v12
	v_mov_b32_e32 v1, v13
	ds_write2_b64 v2, v[8:9], v[10:11] offset1:1
	ds_write2_b64 v2, v[16:17], v[0:1] offset0:2 offset1:3
	ds_write_b64 v2, v[20:21] offset:32
.LBB0_7:
	s_or_b64 exec, exec, s[0:1]
	s_load_dwordx2 s[0:1], s[4:5], 0x20
	v_add_lshl_u32 v39, v36, v35, 3
	s_waitcnt lgkmcnt(0)
	s_barrier
	s_and_saveexec_b64 s[2:3], vcc
	s_cbranch_execz .LBB0_9
; %bb.8:
	ds_read2_b64 v[16:19], v39 offset0:90 offset1:135
	ds_read2_b64 v[8:11], v39 offset1:45
	ds_read_b64 v[20:21], v39 offset:1440
	s_waitcnt lgkmcnt(2)
	v_mov_b32_e32 v12, v18
	v_mov_b32_e32 v13, v19
.LBB0_9:
	s_or_b64 exec, exec, s[2:3]
	s_movk_i32 s2, 0xcd
	v_mul_lo_u16_sdwa v0, v35, s2 dst_sel:DWORD dst_unused:UNUSED_PAD src0_sel:BYTE_0 src1_sel:DWORD
	v_lshrrev_b16_e32 v42, 10, v0
	v_mul_lo_u16_e32 v0, 5, v42
	v_sub_u16_e32 v40, v35, v0
	v_mov_b32_e32 v0, 5
	v_lshlrev_b32_sdwa v14, v0, v40 dst_sel:DWORD dst_unused:UNUSED_PAD src0_sel:DWORD src1_sel:BYTE_0
	global_load_dwordx4 v[0:3], v14, s[10:11]
	global_load_dwordx4 v[4:7], v14, s[10:11] offset:16
	v_mul_u32_u24_e32 v42, 25, v42
	s_waitcnt vmcnt(0) lgkmcnt(0)
	s_barrier
	v_mul_f32_e32 v14, v17, v3
	v_mul_f32_e32 v15, v16, v3
	;; [unrolled: 1-line block ×8, first 2 shown]
	v_fma_f32 v14, v16, v2, -v14
	v_fmac_f32_e32 v15, v17, v2
	v_fma_f32 v12, v12, v4, -v18
	v_fmac_f32_e32 v22, v13, v4
	v_fma_f32 v13, v10, v0, -v19
	v_fma_f32 v10, v20, v6, -v25
	v_fmac_f32_e32 v23, v21, v6
	v_fmac_f32_e32 v24, v11, v0
	v_sub_f32_e32 v11, v13, v14
	v_sub_f32_e32 v16, v10, v12
	;; [unrolled: 1-line block ×4, first 2 shown]
	v_add_f32_e32 v33, v14, v12
	v_add_f32_e32 v43, v13, v10
	;; [unrolled: 1-line block ×4, first 2 shown]
	v_sub_f32_e32 v18, v14, v13
	v_sub_f32_e32 v19, v12, v10
	;; [unrolled: 1-line block ×4, first 2 shown]
	v_add_f32_e32 v41, v11, v16
	v_add_f32_e32 v28, v25, v27
	v_fma_f32 v11, -0.5, v33, v8
	v_fma_f32 v16, -0.5, v43, v8
	;; [unrolled: 1-line block ×4, first 2 shown]
	v_sub_f32_e32 v20, v24, v23
	v_sub_f32_e32 v26, v15, v22
	;; [unrolled: 1-line block ×4, first 2 shown]
	v_add_f32_e32 v34, v18, v19
	v_add_f32_e32 v27, v29, v30
	v_mov_b32_e32 v29, v11
	v_mov_b32_e32 v30, v25
	;; [unrolled: 1-line block ×4, first 2 shown]
	v_fmac_f32_e32 v29, 0xbf737871, v20
	v_fmac_f32_e32 v18, 0x3f737871, v26
	;; [unrolled: 1-line block ×12, first 2 shown]
	s_and_saveexec_b64 s[2:3], vcc
	s_cbranch_execz .LBB0_11
; %bb.10:
	v_mul_f32_e32 v46, 0x3f167918, v21
	v_mul_f32_e32 v21, 0x3f737871, v21
	v_add_f32_e32 v8, v8, v13
	v_mul_f32_e32 v43, 0x3f737871, v20
	v_mul_f32_e32 v45, 0x3f737871, v17
	;; [unrolled: 1-line block ×3, first 2 shown]
	v_add_f32_e32 v21, v21, v33
	v_add_f32_e32 v9, v9, v24
	;; [unrolled: 1-line block ×3, first 2 shown]
	v_mul_f32_e32 v44, 0x3f167918, v26
	v_mul_f32_e32 v26, 0x3f737871, v26
	v_sub_f32_e32 v17, v21, v17
	v_sub_f32_e32 v21, v25, v45
	v_add_f32_e32 v9, v9, v15
	v_add_f32_e32 v11, v11, v43
	;; [unrolled: 1-line block ×3, first 2 shown]
	v_mul_f32_e32 v41, 0x3e9e377a, v41
	v_mul_f32_e32 v20, 0x3f167918, v20
	;; [unrolled: 1-line block ×3, first 2 shown]
	v_sub_f32_e32 v21, v21, v46
	v_add_f32_e32 v9, v9, v22
	v_sub_f32_e32 v15, v16, v26
	v_add_f32_e32 v11, v44, v11
	v_add_f32_e32 v8, v8, v10
	v_add_u32_sdwa v10, v42, v40 dst_sel:DWORD dst_unused:UNUSED_PAD src0_sel:DWORD src1_sel:BYTE_0
	v_mul_f32_e32 v34, 0x3e9e377a, v34
	v_mul_f32_e32 v27, 0x3e9e377a, v27
	v_add_f32_e32 v21, v28, v21
	v_add_f32_e32 v9, v9, v23
	v_add_f32_e32 v15, v20, v15
	v_add_f32_e32 v20, v41, v11
	v_add_lshl_u32 v10, v36, v10, 3
	v_add_f32_e32 v17, v27, v17
	v_add_f32_e32 v16, v34, v15
	ds_write2_b64 v10, v[8:9], v[20:21] offset1:5
	ds_write2_b64 v10, v[16:17], v[18:19] offset0:10 offset1:15
	ds_write_b64 v10, v[29:30] offset:160
.LBB0_11:
	s_or_b64 exec, exec, s[2:3]
	v_mov_b32_e32 v8, 41
	v_mul_lo_u16_sdwa v8, v35, v8 dst_sel:DWORD dst_unused:UNUSED_PAD src0_sel:BYTE_0 src1_sel:DWORD
	v_lshrrev_b16_e32 v20, 10, v8
	v_mul_lo_u16_e32 v8, 25, v20
	v_sub_u16_e32 v21, v35, v8
	v_mov_b32_e32 v8, 4
	v_lshlrev_b32_sdwa v8, v8, v21 dst_sel:DWORD dst_unused:UNUSED_PAD src0_sel:DWORD src1_sel:BYTE_0
	s_load_dwordx4 s[0:3], s[0:1], 0x0
	s_waitcnt lgkmcnt(0)
	s_barrier
	global_load_dwordx4 v[8:11], v8, s[10:11] offset:160
	ds_read2_b64 v[12:15], v39 offset1:75
	ds_read_b64 v[16:17], v39 offset:1200
	v_mul_u32_u24_e32 v20, 0x4b, v20
	v_add_u32_sdwa v20, v20, v21 dst_sel:DWORD dst_unused:UNUSED_PAD src0_sel:DWORD src1_sel:BYTE_0
	v_add_lshl_u32 v43, v36, v20, 3
	v_lshlrev_b32_e32 v22, 4, v35
	s_waitcnt vmcnt(0) lgkmcnt(0)
	s_barrier
	v_lshl_add_u32 v41, v35, 3, v38
	v_mul_f32_e32 v20, v15, v9
	v_mul_f32_e32 v21, v14, v9
	v_mul_f32_e32 v23, v17, v11
	v_mul_f32_e32 v24, v16, v11
	v_fma_f32 v14, v14, v8, -v20
	v_fmac_f32_e32 v21, v15, v8
	v_fma_f32 v15, v16, v10, -v23
	v_fmac_f32_e32 v24, v17, v10
	v_add_f32_e32 v17, v14, v15
	v_sub_f32_e32 v20, v21, v24
	v_add_f32_e32 v23, v13, v21
	v_add_f32_e32 v21, v21, v24
	;; [unrolled: 1-line block ×3, first 2 shown]
	v_sub_f32_e32 v25, v14, v15
	v_fma_f32 v12, -0.5, v17, v12
	v_fma_f32 v13, -0.5, v21, v13
	v_add_f32_e32 v14, v16, v15
	v_add_f32_e32 v15, v23, v24
	v_mov_b32_e32 v16, v12
	v_fmac_f32_e32 v12, 0xbf5db3d7, v20
	v_mov_b32_e32 v17, v13
	v_fmac_f32_e32 v13, 0x3f5db3d7, v25
	v_fmac_f32_e32 v16, 0x3f5db3d7, v20
	;; [unrolled: 1-line block ×3, first 2 shown]
	ds_write_b64 v43, v[12:13] offset:400
	ds_write2_b64 v43, v[14:15], v[16:17] offset1:25
	s_waitcnt lgkmcnt(0)
	s_barrier
	global_load_dwordx4 v[12:15], v22, s[10:11] offset:560
	ds_read2_b64 v[21:24], v39 offset1:75
	ds_read_b64 v[16:17], v39 offset:1200
	s_waitcnt vmcnt(0) lgkmcnt(1)
	v_mul_f32_e32 v20, v24, v13
	v_mul_f32_e32 v25, v23, v13
	s_waitcnt lgkmcnt(0)
	v_mul_f32_e32 v26, v17, v15
	v_mul_f32_e32 v27, v16, v15
	v_fma_f32 v20, v23, v12, -v20
	v_fmac_f32_e32 v25, v24, v12
	v_fma_f32 v16, v16, v14, -v26
	v_fmac_f32_e32 v27, v17, v14
	v_add_f32_e32 v17, v21, v20
	v_add_f32_e32 v23, v20, v16
	v_sub_f32_e32 v24, v25, v27
	v_add_f32_e32 v26, v22, v25
	v_add_f32_e32 v25, v25, v27
	v_sub_f32_e32 v28, v20, v16
	v_add_f32_e32 v20, v17, v16
	v_fma_f32 v16, -0.5, v23, v21
	v_fma_f32 v17, -0.5, v25, v22
	v_mov_b32_e32 v22, v16
	v_mov_b32_e32 v23, v17
	v_add_f32_e32 v21, v26, v27
	v_fmac_f32_e32 v16, 0xbf5db3d7, v24
	v_fmac_f32_e32 v17, 0x3f5db3d7, v28
	;; [unrolled: 1-line block ×4, first 2 shown]
	ds_write_b64 v41, v[16:17] offset:1200
	ds_write2_b64 v41, v[20:21], v[22:23] offset1:75
	s_waitcnt lgkmcnt(0)
	s_barrier
	s_and_saveexec_b64 s[4:5], vcc
	s_cbranch_execz .LBB0_13
; %bb.12:
	global_load_dwordx2 v[33:34], v37, s[8:9] offset:1800
	s_add_u32 s10, s8, 0x708
	s_addc_u32 s11, s9, 0
	global_load_dwordx2 v[48:49], v37, s[10:11] offset:360
	global_load_dwordx2 v[50:51], v37, s[10:11] offset:720
	global_load_dwordx2 v[52:53], v37, s[10:11] offset:1080
	global_load_dwordx2 v[54:55], v37, s[10:11] offset:1440
	ds_read2_b64 v[24:27], v41 offset1:45
	ds_read2_b64 v[44:47], v41 offset0:90 offset1:135
	ds_read_b64 v[56:57], v41 offset:1440
	s_waitcnt vmcnt(4) lgkmcnt(2)
	v_mul_f32_e32 v28, v25, v34
	v_mul_f32_e32 v59, v24, v34
	v_fma_f32 v58, v24, v33, -v28
	v_fmac_f32_e32 v59, v25, v33
	s_waitcnt vmcnt(3)
	v_mul_f32_e32 v24, v27, v49
	v_mul_f32_e32 v25, v26, v49
	s_waitcnt vmcnt(2) lgkmcnt(1)
	v_mul_f32_e32 v33, v45, v51
	v_mul_f32_e32 v28, v44, v51
	s_waitcnt vmcnt(1)
	v_mul_f32_e32 v51, v47, v53
	v_mul_f32_e32 v34, v46, v53
	s_waitcnt vmcnt(0) lgkmcnt(0)
	v_mul_f32_e32 v53, v57, v55
	v_mul_f32_e32 v49, v56, v55
	v_fma_f32 v24, v26, v48, -v24
	v_fmac_f32_e32 v25, v27, v48
	v_fma_f32 v27, v44, v50, -v33
	v_fmac_f32_e32 v28, v45, v50
	;; [unrolled: 2-line block ×4, first 2 shown]
	ds_write2_b64 v41, v[58:59], v[24:25] offset1:45
	ds_write2_b64 v41, v[27:28], v[33:34] offset0:90 offset1:135
	ds_write_b64 v41, v[48:49] offset:1440
.LBB0_13:
	s_or_b64 exec, exec, s[4:5]
	s_waitcnt lgkmcnt(0)
	s_barrier
	s_and_saveexec_b64 s[4:5], vcc
	s_cbranch_execz .LBB0_15
; %bb.14:
	ds_read2_b64 v[20:23], v41 offset1:45
	ds_read2_b64 v[16:19], v41 offset0:90 offset1:135
	ds_read_b64 v[29:30], v41 offset:1440
.LBB0_15:
	s_or_b64 exec, exec, s[4:5]
	s_waitcnt lgkmcnt(1)
	v_add_f32_e32 v25, v16, v18
	v_fma_f32 v33, -0.5, v25, v20
	s_waitcnt lgkmcnt(0)
	v_sub_f32_e32 v25, v23, v30
	v_mov_b32_e32 v26, v33
	v_fmac_f32_e32 v26, 0xbf737871, v25
	v_sub_f32_e32 v27, v17, v19
	v_sub_f32_e32 v28, v22, v16
	;; [unrolled: 1-line block ×3, first 2 shown]
	v_fmac_f32_e32 v33, 0x3f737871, v25
	v_fmac_f32_e32 v26, 0xbf167918, v27
	v_add_f32_e32 v28, v28, v34
	v_fmac_f32_e32 v33, 0x3f167918, v27
	v_fmac_f32_e32 v26, 0x3e9e377a, v28
	v_fmac_f32_e32 v33, 0x3e9e377a, v28
	v_add_f32_e32 v28, v22, v29
	v_add_f32_e32 v24, v20, v22
	v_fmac_f32_e32 v20, -0.5, v28
	v_mov_b32_e32 v28, v20
	v_fmac_f32_e32 v28, 0x3f737871, v27
	v_sub_f32_e32 v34, v16, v22
	v_sub_f32_e32 v44, v18, v29
	v_fmac_f32_e32 v20, 0xbf737871, v27
	v_fmac_f32_e32 v28, 0xbf167918, v25
	v_add_f32_e32 v34, v34, v44
	v_fmac_f32_e32 v20, 0x3f167918, v25
	v_add_f32_e32 v27, v17, v19
	v_add_f32_e32 v24, v24, v16
	v_fmac_f32_e32 v28, 0x3e9e377a, v34
	v_fmac_f32_e32 v20, 0x3e9e377a, v34
	v_fma_f32 v34, -0.5, v27, v21
	v_add_f32_e32 v24, v24, v18
	v_sub_f32_e32 v22, v22, v29
	v_mov_b32_e32 v27, v34
	v_add_f32_e32 v24, v24, v29
	v_fmac_f32_e32 v27, 0x3f737871, v22
	v_sub_f32_e32 v16, v16, v18
	v_sub_f32_e32 v18, v23, v17
	;; [unrolled: 1-line block ×3, first 2 shown]
	v_fmac_f32_e32 v34, 0xbf737871, v22
	v_fmac_f32_e32 v27, 0x3f167918, v16
	v_add_f32_e32 v18, v18, v29
	v_fmac_f32_e32 v34, 0xbf167918, v16
	v_fmac_f32_e32 v27, 0x3e9e377a, v18
	;; [unrolled: 1-line block ×3, first 2 shown]
	v_add_f32_e32 v18, v23, v30
	v_add_f32_e32 v25, v21, v23
	v_fmac_f32_e32 v21, -0.5, v18
	v_mov_b32_e32 v29, v21
	v_add_f32_e32 v25, v25, v17
	v_fmac_f32_e32 v29, 0xbf737871, v16
	v_sub_f32_e32 v17, v17, v23
	v_sub_f32_e32 v18, v19, v30
	v_fmac_f32_e32 v21, 0x3f737871, v16
	v_add_f32_e32 v25, v25, v19
	v_fmac_f32_e32 v29, 0x3f167918, v22
	v_add_f32_e32 v17, v17, v18
	;; [unrolled: 2-line block ×3, first 2 shown]
	v_fmac_f32_e32 v29, 0x3e9e377a, v17
	v_fmac_f32_e32 v21, 0x3e9e377a, v17
	s_barrier
	s_and_saveexec_b64 s[4:5], vcc
	s_cbranch_execz .LBB0_17
; %bb.16:
	v_lshl_add_u32 v18, v31, 3, v38
	v_mov_b32_e32 v16, v20
	v_mov_b32_e32 v17, v21
	ds_write2_b64 v18, v[24:25], v[26:27] offset1:1
	ds_write2_b64 v18, v[28:29], v[16:17] offset0:2 offset1:3
	ds_write_b64 v18, v[33:34] offset:32
.LBB0_17:
	s_or_b64 exec, exec, s[4:5]
	s_waitcnt lgkmcnt(0)
	s_barrier
	s_and_saveexec_b64 s[4:5], vcc
	s_cbranch_execz .LBB0_19
; %bb.18:
	ds_read2_b64 v[28:31], v39 offset0:90 offset1:135
	ds_read2_b64 v[24:27], v39 offset1:45
	ds_read_b64 v[33:34], v39 offset:1440
	s_waitcnt lgkmcnt(2)
	v_mov_b32_e32 v20, v30
	v_mov_b32_e32 v21, v31
.LBB0_19:
	s_or_b64 exec, exec, s[4:5]
	s_waitcnt lgkmcnt(0)
	s_barrier
	s_and_saveexec_b64 s[4:5], vcc
	s_cbranch_execz .LBB0_21
; %bb.20:
	v_mul_f32_e32 v19, v5, v20
	v_mul_f32_e32 v16, v3, v28
	;; [unrolled: 1-line block ×3, first 2 shown]
	v_fma_f32 v22, v4, v21, -v19
	v_mul_f32_e32 v19, v7, v33
	v_fma_f32 v16, v2, v29, -v16
	v_fma_f32 v18, v0, v27, -v17
	;; [unrolled: 1-line block ×3, first 2 shown]
	v_mul_f32_e32 v29, v3, v29
	v_mul_f32_e32 v21, v5, v21
	v_fmac_f32_e32 v29, v2, v28
	v_fmac_f32_e32 v21, v4, v20
	v_add_f32_e32 v2, v18, v23
	v_mul_f32_e32 v20, v1, v27
	v_fma_f32 v2, -0.5, v2, v25
	v_fmac_f32_e32 v20, v0, v26
	v_mul_f32_e32 v0, v7, v34
	v_sub_f32_e32 v3, v29, v21
	v_mov_b32_e32 v4, v2
	v_fmac_f32_e32 v0, v6, v33
	v_sub_f32_e32 v5, v18, v16
	v_sub_f32_e32 v6, v23, v22
	;; [unrolled: 1-line block ×4, first 2 shown]
	v_fmac_f32_e32 v4, 0x3f737871, v3
	v_sub_f32_e32 v1, v20, v0
	v_fmac_f32_e32 v2, 0xbf737871, v3
	v_add_f32_e32 v5, v5, v6
	v_add_f32_e32 v6, v16, v22
	;; [unrolled: 1-line block ×3, first 2 shown]
	v_fmac_f32_e32 v4, 0xbf167918, v1
	v_fmac_f32_e32 v2, 0x3f167918, v1
	v_fma_f32 v6, -0.5, v6, v25
	v_fmac_f32_e32 v4, 0x3e9e377a, v17
	v_fmac_f32_e32 v2, 0x3e9e377a, v17
	v_mov_b32_e32 v17, v6
	v_fmac_f32_e32 v17, 0xbf737871, v1
	v_fmac_f32_e32 v6, 0x3f737871, v1
	v_add_f32_e32 v1, v25, v18
	v_add_f32_e32 v1, v1, v16
	v_add_f32_e32 v1, v1, v22
	v_fmac_f32_e32 v17, 0xbf167918, v3
	v_fmac_f32_e32 v6, 0x3f167918, v3
	v_add_f32_e32 v19, v1, v23
	v_sub_f32_e32 v1, v29, v20
	v_sub_f32_e32 v3, v21, v0
	v_fmac_f32_e32 v17, 0x3e9e377a, v5
	v_fmac_f32_e32 v6, 0x3e9e377a, v5
	v_add_f32_e32 v5, v1, v3
	v_add_f32_e32 v1, v20, v0
	v_fma_f32 v1, -0.5, v1, v24
	v_sub_f32_e32 v7, v18, v23
	v_sub_f32_e32 v18, v16, v22
	v_mov_b32_e32 v3, v1
	v_fmac_f32_e32 v3, 0xbf737871, v18
	v_fmac_f32_e32 v1, 0x3f737871, v18
	v_fmac_f32_e32 v3, 0x3f167918, v7
	v_fmac_f32_e32 v1, 0xbf167918, v7
	v_fmac_f32_e32 v3, 0x3e9e377a, v5
	v_fmac_f32_e32 v1, 0x3e9e377a, v5
	v_sub_f32_e32 v5, v20, v29
	v_sub_f32_e32 v16, v0, v21
	v_add_f32_e32 v22, v5, v16
	v_add_f32_e32 v5, v29, v21
	v_fma_f32 v5, -0.5, v5, v24
	v_mov_b32_e32 v16, v5
	v_fmac_f32_e32 v16, 0x3f737871, v7
	v_fmac_f32_e32 v5, 0xbf737871, v7
	v_add_f32_e32 v7, v24, v20
	v_add_f32_e32 v7, v7, v29
	;; [unrolled: 1-line block ×3, first 2 shown]
	v_fmac_f32_e32 v16, 0x3f167918, v18
	v_fmac_f32_e32 v5, 0xbf167918, v18
	v_add_f32_e32 v18, v7, v0
	v_add_u32_sdwa v0, v42, v40 dst_sel:DWORD dst_unused:UNUSED_PAD src0_sel:DWORD src1_sel:BYTE_0
	v_fmac_f32_e32 v5, 0x3e9e377a, v22
	v_lshl_add_u32 v0, v0, 3, v38
	v_fmac_f32_e32 v16, 0x3e9e377a, v22
	ds_write2_b64 v0, v[18:19], v[5:6] offset1:5
	ds_write2_b64 v0, v[1:2], v[3:4] offset0:10 offset1:15
	ds_write_b64 v0, v[16:17] offset:160
.LBB0_21:
	s_or_b64 exec, exec, s[4:5]
	s_waitcnt lgkmcnt(0)
	s_barrier
	ds_read2_b64 v[0:3], v39 offset1:75
	ds_read_b64 v[4:5], v39 offset:1200
	s_waitcnt lgkmcnt(0)
	s_barrier
	v_mul_f32_e32 v6, v9, v3
	v_fmac_f32_e32 v6, v8, v2
	v_mul_f32_e32 v2, v9, v2
	v_fma_f32 v7, v8, v3, -v2
	v_mul_f32_e32 v8, v11, v5
	v_fmac_f32_e32 v8, v10, v4
	v_mul_f32_e32 v2, v11, v4
	v_add_f32_e32 v3, v6, v8
	v_fma_f32 v5, v10, v5, -v2
	v_add_f32_e32 v2, v0, v6
	v_fma_f32 v0, -0.5, v3, v0
	v_sub_f32_e32 v3, v7, v5
	v_mov_b32_e32 v4, v0
	v_fmac_f32_e32 v4, 0xbf5db3d7, v3
	v_fmac_f32_e32 v0, 0x3f5db3d7, v3
	v_add_f32_e32 v3, v1, v7
	v_add_f32_e32 v3, v3, v5
	;; [unrolled: 1-line block ×3, first 2 shown]
	v_fma_f32 v1, -0.5, v5, v1
	v_sub_f32_e32 v6, v6, v8
	v_mov_b32_e32 v5, v1
	v_add_f32_e32 v2, v2, v8
	v_fmac_f32_e32 v5, 0x3f5db3d7, v6
	v_fmac_f32_e32 v1, 0xbf5db3d7, v6
	ds_write2_b64 v43, v[2:3], v[4:5] offset1:25
	ds_write_b64 v43, v[0:1] offset:400
	s_waitcnt lgkmcnt(0)
	s_barrier
	ds_read2_b64 v[0:3], v39 offset1:75
	ds_read_b64 v[4:5], v39 offset:1200
	s_waitcnt lgkmcnt(1)
	v_mul_f32_e32 v6, v13, v3
	s_waitcnt lgkmcnt(0)
	v_mul_f32_e32 v8, v15, v5
	v_fmac_f32_e32 v6, v12, v2
	v_mul_f32_e32 v2, v13, v2
	v_fmac_f32_e32 v8, v14, v4
	v_fma_f32 v7, v12, v3, -v2
	v_mul_f32_e32 v2, v15, v4
	v_add_f32_e32 v3, v6, v8
	v_fma_f32 v5, v14, v5, -v2
	v_add_f32_e32 v2, v0, v6
	v_fma_f32 v0, -0.5, v3, v0
	v_sub_f32_e32 v3, v7, v5
	v_mov_b32_e32 v4, v0
	v_fmac_f32_e32 v4, 0xbf5db3d7, v3
	v_fmac_f32_e32 v0, 0x3f5db3d7, v3
	v_add_f32_e32 v3, v1, v7
	v_add_f32_e32 v3, v3, v5
	;; [unrolled: 1-line block ×3, first 2 shown]
	v_fma_f32 v1, -0.5, v5, v1
	v_sub_f32_e32 v6, v6, v8
	v_mov_b32_e32 v5, v1
	v_add_f32_e32 v2, v2, v8
	v_fmac_f32_e32 v5, 0x3f5db3d7, v6
	v_fmac_f32_e32 v1, 0xbf5db3d7, v6
	ds_write2_b64 v41, v[2:3], v[4:5] offset1:75
	ds_write_b64 v41, v[0:1] offset:1200
	s_waitcnt lgkmcnt(0)
	s_barrier
	s_and_b64 exec, exec, vcc
	s_cbranch_execz .LBB0_23
; %bb.22:
	global_load_dwordx2 v[8:9], v37, s[8:9]
	global_load_dwordx2 v[10:11], v37, s[8:9] offset:360
	global_load_dwordx2 v[12:13], v37, s[8:9] offset:720
	;; [unrolled: 1-line block ×4, first 2 shown]
	ds_read_b64 v[20:21], v41
	v_mad_u64_u32 v[18:19], s[4:5], s2, v32, 0
	v_mov_b32_e32 v27, s7
	s_mul_i32 s2, s1, 0x168
	s_mul_hi_u32 s7, s0, 0x168
	v_mad_u64_u32 v[22:23], s[8:9], s0, v35, 0
	s_add_i32 s7, s7, s2
	s_waitcnt lgkmcnt(0)
	v_mad_u64_u32 v[24:25], s[2:3], s3, v32, v[19:20]
	s_mul_i32 s8, s0, 0x168
	v_lshl_add_u32 v4, v36, 3, v37
	v_mad_u64_u32 v[25:26], s[0:1], s1, v35, v[23:24]
	v_mov_b32_e32 v19, v24
	v_lshlrev_b64 v[18:19], 3, v[18:19]
	v_mov_b32_e32 v23, v25
	v_lshlrev_b64 v[22:23], 3, v[22:23]
	v_add_co_u32_e32 v18, vcc, s6, v18
	v_addc_co_u32_e32 v19, vcc, v27, v19, vcc
	ds_read2_b64 v[0:3], v4 offset0:45 offset1:90
	v_add_co_u32_e32 v18, vcc, v18, v22
	ds_read2_b64 v[4:7], v4 offset0:135 offset1:180
	v_addc_co_u32_e32 v19, vcc, v19, v23, vcc
	v_mov_b32_e32 v26, s7
	v_add_co_u32_e32 v22, vcc, s8, v18
	v_addc_co_u32_e32 v23, vcc, v19, v26, vcc
	v_mov_b32_e32 v28, s7
	v_add_co_u32_e32 v24, vcc, s8, v22
	v_addc_co_u32_e32 v25, vcc, v23, v28, vcc
	s_mov_b32 s4, 0x789abcdf
	s_mov_b32 s5, 0x3f723456
	s_waitcnt vmcnt(4)
	v_mul_f32_e32 v26, v21, v9
	v_mul_f32_e32 v9, v20, v9
	s_waitcnt vmcnt(3) lgkmcnt(1)
	v_mul_f32_e32 v27, v1, v11
	v_mul_f32_e32 v11, v0, v11
	s_waitcnt vmcnt(2)
	v_mul_f32_e32 v28, v3, v13
	v_mul_f32_e32 v13, v2, v13
	v_fmac_f32_e32 v26, v20, v8
	v_fma_f32 v8, v8, v21, -v9
	s_waitcnt vmcnt(1) lgkmcnt(0)
	v_mul_f32_e32 v29, v5, v15
	v_mul_f32_e32 v15, v4, v15
	s_waitcnt vmcnt(0)
	v_mul_f32_e32 v30, v7, v17
	v_mul_f32_e32 v17, v6, v17
	v_fmac_f32_e32 v27, v0, v10
	v_fma_f32 v9, v10, v1, -v11
	v_fmac_f32_e32 v28, v2, v12
	v_fma_f32 v10, v12, v3, -v13
	v_cvt_f64_f32_e32 v[0:1], v26
	v_cvt_f64_f32_e32 v[2:3], v8
	v_fmac_f32_e32 v29, v4, v14
	v_fma_f32 v14, v14, v5, -v15
	v_fmac_f32_e32 v30, v6, v16
	v_fma_f32 v20, v16, v7, -v17
	v_cvt_f64_f32_e32 v[4:5], v27
	v_cvt_f64_f32_e32 v[6:7], v9
	;; [unrolled: 1-line block ×8, first 2 shown]
	v_mul_f64 v[0:1], v[0:1], s[4:5]
	v_mul_f64 v[2:3], v[2:3], s[4:5]
	;; [unrolled: 1-line block ×10, first 2 shown]
	v_cvt_f32_f64_e32 v0, v[0:1]
	v_cvt_f32_f64_e32 v1, v[2:3]
	v_cvt_f32_f64_e32 v2, v[4:5]
	v_cvt_f32_f64_e32 v3, v[6:7]
	v_cvt_f32_f64_e32 v4, v[8:9]
	v_cvt_f32_f64_e32 v5, v[10:11]
	v_cvt_f32_f64_e32 v6, v[12:13]
	v_cvt_f32_f64_e32 v7, v[14:15]
	global_store_dwordx2 v[18:19], v[0:1], off
	global_store_dwordx2 v[22:23], v[2:3], off
	;; [unrolled: 1-line block ×3, first 2 shown]
	v_mov_b32_e32 v1, s7
	v_add_co_u32_e32 v0, vcc, s8, v24
	v_cvt_f32_f64_e32 v2, v[16:17]
	v_cvt_f32_f64_e32 v3, v[20:21]
	v_addc_co_u32_e32 v1, vcc, v25, v1, vcc
	global_store_dwordx2 v[0:1], v[6:7], off
	v_mov_b32_e32 v4, s7
	v_add_co_u32_e32 v0, vcc, s8, v0
	v_addc_co_u32_e32 v1, vcc, v1, v4, vcc
	global_store_dwordx2 v[0:1], v[2:3], off
.LBB0_23:
	s_endpgm
	.section	.rodata,"a",@progbits
	.p2align	6, 0x0
	.amdhsa_kernel bluestein_single_fwd_len225_dim1_sp_op_CI_CI
		.amdhsa_group_segment_fixed_size 5400
		.amdhsa_private_segment_fixed_size 0
		.amdhsa_kernarg_size 104
		.amdhsa_user_sgpr_count 6
		.amdhsa_user_sgpr_private_segment_buffer 1
		.amdhsa_user_sgpr_dispatch_ptr 0
		.amdhsa_user_sgpr_queue_ptr 0
		.amdhsa_user_sgpr_kernarg_segment_ptr 1
		.amdhsa_user_sgpr_dispatch_id 0
		.amdhsa_user_sgpr_flat_scratch_init 0
		.amdhsa_user_sgpr_private_segment_size 0
		.amdhsa_uses_dynamic_stack 0
		.amdhsa_system_sgpr_private_segment_wavefront_offset 0
		.amdhsa_system_sgpr_workgroup_id_x 1
		.amdhsa_system_sgpr_workgroup_id_y 0
		.amdhsa_system_sgpr_workgroup_id_z 0
		.amdhsa_system_sgpr_workgroup_info 0
		.amdhsa_system_vgpr_workitem_id 0
		.amdhsa_next_free_vgpr 60
		.amdhsa_next_free_sgpr 16
		.amdhsa_reserve_vcc 1
		.amdhsa_reserve_flat_scratch 0
		.amdhsa_float_round_mode_32 0
		.amdhsa_float_round_mode_16_64 0
		.amdhsa_float_denorm_mode_32 3
		.amdhsa_float_denorm_mode_16_64 3
		.amdhsa_dx10_clamp 1
		.amdhsa_ieee_mode 1
		.amdhsa_fp16_overflow 0
		.amdhsa_exception_fp_ieee_invalid_op 0
		.amdhsa_exception_fp_denorm_src 0
		.amdhsa_exception_fp_ieee_div_zero 0
		.amdhsa_exception_fp_ieee_overflow 0
		.amdhsa_exception_fp_ieee_underflow 0
		.amdhsa_exception_fp_ieee_inexact 0
		.amdhsa_exception_int_div_zero 0
	.end_amdhsa_kernel
	.text
.Lfunc_end0:
	.size	bluestein_single_fwd_len225_dim1_sp_op_CI_CI, .Lfunc_end0-bluestein_single_fwd_len225_dim1_sp_op_CI_CI
                                        ; -- End function
	.section	.AMDGPU.csdata,"",@progbits
; Kernel info:
; codeLenInByte = 4376
; NumSgprs: 20
; NumVgprs: 60
; ScratchSize: 0
; MemoryBound: 0
; FloatMode: 240
; IeeeMode: 1
; LDSByteSize: 5400 bytes/workgroup (compile time only)
; SGPRBlocks: 2
; VGPRBlocks: 14
; NumSGPRsForWavesPerEU: 20
; NumVGPRsForWavesPerEU: 60
; Occupancy: 4
; WaveLimiterHint : 1
; COMPUTE_PGM_RSRC2:SCRATCH_EN: 0
; COMPUTE_PGM_RSRC2:USER_SGPR: 6
; COMPUTE_PGM_RSRC2:TRAP_HANDLER: 0
; COMPUTE_PGM_RSRC2:TGID_X_EN: 1
; COMPUTE_PGM_RSRC2:TGID_Y_EN: 0
; COMPUTE_PGM_RSRC2:TGID_Z_EN: 0
; COMPUTE_PGM_RSRC2:TIDIG_COMP_CNT: 0
	.type	__hip_cuid_b98303ea3da35e3,@object ; @__hip_cuid_b98303ea3da35e3
	.section	.bss,"aw",@nobits
	.globl	__hip_cuid_b98303ea3da35e3
__hip_cuid_b98303ea3da35e3:
	.byte	0                               ; 0x0
	.size	__hip_cuid_b98303ea3da35e3, 1

	.ident	"AMD clang version 19.0.0git (https://github.com/RadeonOpenCompute/llvm-project roc-6.4.0 25133 c7fe45cf4b819c5991fe208aaa96edf142730f1d)"
	.section	".note.GNU-stack","",@progbits
	.addrsig
	.addrsig_sym __hip_cuid_b98303ea3da35e3
	.amdgpu_metadata
---
amdhsa.kernels:
  - .args:
      - .actual_access:  read_only
        .address_space:  global
        .offset:         0
        .size:           8
        .value_kind:     global_buffer
      - .actual_access:  read_only
        .address_space:  global
        .offset:         8
        .size:           8
        .value_kind:     global_buffer
      - .actual_access:  read_only
        .address_space:  global
        .offset:         16
        .size:           8
        .value_kind:     global_buffer
      - .actual_access:  read_only
        .address_space:  global
        .offset:         24
        .size:           8
        .value_kind:     global_buffer
      - .actual_access:  read_only
        .address_space:  global
        .offset:         32
        .size:           8
        .value_kind:     global_buffer
      - .offset:         40
        .size:           8
        .value_kind:     by_value
      - .address_space:  global
        .offset:         48
        .size:           8
        .value_kind:     global_buffer
      - .address_space:  global
        .offset:         56
        .size:           8
        .value_kind:     global_buffer
      - .address_space:  global
        .offset:         64
        .size:           8
        .value_kind:     global_buffer
      - .address_space:  global
        .offset:         72
        .size:           8
        .value_kind:     global_buffer
      - .offset:         80
        .size:           4
        .value_kind:     by_value
      - .address_space:  global
        .offset:         88
        .size:           8
        .value_kind:     global_buffer
      - .address_space:  global
        .offset:         96
        .size:           8
        .value_kind:     global_buffer
    .group_segment_fixed_size: 5400
    .kernarg_segment_align: 8
    .kernarg_segment_size: 104
    .language:       OpenCL C
    .language_version:
      - 2
      - 0
    .max_flat_workgroup_size: 225
    .name:           bluestein_single_fwd_len225_dim1_sp_op_CI_CI
    .private_segment_fixed_size: 0
    .sgpr_count:     20
    .sgpr_spill_count: 0
    .symbol:         bluestein_single_fwd_len225_dim1_sp_op_CI_CI.kd
    .uniform_work_group_size: 1
    .uses_dynamic_stack: false
    .vgpr_count:     60
    .vgpr_spill_count: 0
    .wavefront_size: 64
amdhsa.target:   amdgcn-amd-amdhsa--gfx906
amdhsa.version:
  - 1
  - 2
...

	.end_amdgpu_metadata
